;; amdgpu-corpus repo=ROCm/rocFFT kind=compiled arch=gfx1030 opt=O3
	.text
	.amdgcn_target "amdgcn-amd-amdhsa--gfx1030"
	.amdhsa_code_object_version 6
	.protected	fft_rtc_fwd_len768_factors_16_3_16_wgs_48_tpt_48_halfLds_half_op_CI_CI_sbrr_dirReg ; -- Begin function fft_rtc_fwd_len768_factors_16_3_16_wgs_48_tpt_48_halfLds_half_op_CI_CI_sbrr_dirReg
	.globl	fft_rtc_fwd_len768_factors_16_3_16_wgs_48_tpt_48_halfLds_half_op_CI_CI_sbrr_dirReg
	.p2align	8
	.type	fft_rtc_fwd_len768_factors_16_3_16_wgs_48_tpt_48_halfLds_half_op_CI_CI_sbrr_dirReg,@function
fft_rtc_fwd_len768_factors_16_3_16_wgs_48_tpt_48_halfLds_half_op_CI_CI_sbrr_dirReg: ; @fft_rtc_fwd_len768_factors_16_3_16_wgs_48_tpt_48_halfLds_half_op_CI_CI_sbrr_dirReg
; %bb.0:
	s_clause 0x2
	s_load_dwordx4 s[16:19], s[4:5], 0x18
	s_load_dwordx4 s[12:15], s[4:5], 0x0
	;; [unrolled: 1-line block ×3, first 2 shown]
	v_mul_u32_u24_e32 v1, 0x556, v0
	v_mov_b32_e32 v3, 0
	s_waitcnt lgkmcnt(0)
	s_load_dwordx2 s[20:21], s[16:17], 0x0
	s_load_dwordx2 s[2:3], s[18:19], 0x0
	v_cmp_lt_u64_e64 s0, s[14:15], 2
	v_add_nc_u32_sdwa v5, s6, v1 dst_sel:DWORD dst_unused:UNUSED_PAD src0_sel:DWORD src1_sel:WORD_1
	v_mov_b32_e32 v1, 0
	v_mov_b32_e32 v6, v3
	;; [unrolled: 1-line block ×3, first 2 shown]
	s_and_b32 vcc_lo, exec_lo, s0
	s_cbranch_vccnz .LBB0_8
; %bb.1:
	s_load_dwordx2 s[0:1], s[4:5], 0x10
	v_mov_b32_e32 v1, 0
	v_mov_b32_e32 v2, 0
	s_add_u32 s6, s18, 8
	s_addc_u32 s7, s19, 0
	s_add_u32 s22, s16, 8
	s_addc_u32 s23, s17, 0
	v_mov_b32_e32 v16, v2
	v_mov_b32_e32 v15, v1
	s_mov_b64 s[26:27], 1
	s_waitcnt lgkmcnt(0)
	s_add_u32 s24, s0, 8
	s_addc_u32 s25, s1, 0
.LBB0_2:                                ; =>This Inner Loop Header: Depth=1
	s_load_dwordx2 s[28:29], s[24:25], 0x0
                                        ; implicit-def: $vgpr17_vgpr18
	s_mov_b32 s0, exec_lo
	s_waitcnt lgkmcnt(0)
	v_or_b32_e32 v4, s29, v6
	v_cmpx_ne_u64_e32 0, v[3:4]
	s_xor_b32 s1, exec_lo, s0
	s_cbranch_execz .LBB0_4
; %bb.3:                                ;   in Loop: Header=BB0_2 Depth=1
	v_cvt_f32_u32_e32 v4, s28
	v_cvt_f32_u32_e32 v7, s29
	s_sub_u32 s0, 0, s28
	s_subb_u32 s30, 0, s29
	v_fmac_f32_e32 v4, 0x4f800000, v7
	v_rcp_f32_e32 v4, v4
	v_mul_f32_e32 v4, 0x5f7ffffc, v4
	v_mul_f32_e32 v7, 0x2f800000, v4
	v_trunc_f32_e32 v7, v7
	v_fmac_f32_e32 v4, 0xcf800000, v7
	v_cvt_u32_f32_e32 v7, v7
	v_cvt_u32_f32_e32 v4, v4
	v_mul_lo_u32 v8, s0, v7
	v_mul_hi_u32 v9, s0, v4
	v_mul_lo_u32 v10, s30, v4
	v_add_nc_u32_e32 v8, v9, v8
	v_mul_lo_u32 v9, s0, v4
	v_add_nc_u32_e32 v8, v8, v10
	v_mul_hi_u32 v10, v4, v9
	v_mul_lo_u32 v11, v4, v8
	v_mul_hi_u32 v12, v4, v8
	v_mul_hi_u32 v13, v7, v9
	v_mul_lo_u32 v9, v7, v9
	v_mul_hi_u32 v14, v7, v8
	v_mul_lo_u32 v8, v7, v8
	v_add_co_u32 v10, vcc_lo, v10, v11
	v_add_co_ci_u32_e32 v11, vcc_lo, 0, v12, vcc_lo
	v_add_co_u32 v9, vcc_lo, v10, v9
	v_add_co_ci_u32_e32 v9, vcc_lo, v11, v13, vcc_lo
	v_add_co_ci_u32_e32 v10, vcc_lo, 0, v14, vcc_lo
	v_add_co_u32 v8, vcc_lo, v9, v8
	v_add_co_ci_u32_e32 v9, vcc_lo, 0, v10, vcc_lo
	v_add_co_u32 v4, vcc_lo, v4, v8
	v_add_co_ci_u32_e32 v7, vcc_lo, v7, v9, vcc_lo
	v_mul_hi_u32 v8, s0, v4
	v_mul_lo_u32 v10, s30, v4
	v_mul_lo_u32 v9, s0, v7
	v_add_nc_u32_e32 v8, v8, v9
	v_mul_lo_u32 v9, s0, v4
	v_add_nc_u32_e32 v8, v8, v10
	v_mul_hi_u32 v10, v4, v9
	v_mul_lo_u32 v11, v4, v8
	v_mul_hi_u32 v12, v4, v8
	v_mul_hi_u32 v13, v7, v9
	v_mul_lo_u32 v9, v7, v9
	v_mul_hi_u32 v14, v7, v8
	v_mul_lo_u32 v8, v7, v8
	v_add_co_u32 v10, vcc_lo, v10, v11
	v_add_co_ci_u32_e32 v11, vcc_lo, 0, v12, vcc_lo
	v_add_co_u32 v9, vcc_lo, v10, v9
	v_add_co_ci_u32_e32 v9, vcc_lo, v11, v13, vcc_lo
	v_add_co_ci_u32_e32 v10, vcc_lo, 0, v14, vcc_lo
	v_add_co_u32 v8, vcc_lo, v9, v8
	v_add_co_ci_u32_e32 v9, vcc_lo, 0, v10, vcc_lo
	v_add_co_u32 v4, vcc_lo, v4, v8
	v_add_co_ci_u32_e32 v11, vcc_lo, v7, v9, vcc_lo
	v_mul_hi_u32 v13, v5, v4
	v_mad_u64_u32 v[9:10], null, v6, v4, 0
	v_mad_u64_u32 v[7:8], null, v5, v11, 0
	v_mad_u64_u32 v[11:12], null, v6, v11, 0
	v_add_co_u32 v4, vcc_lo, v13, v7
	v_add_co_ci_u32_e32 v7, vcc_lo, 0, v8, vcc_lo
	v_add_co_u32 v4, vcc_lo, v4, v9
	v_add_co_ci_u32_e32 v4, vcc_lo, v7, v10, vcc_lo
	v_add_co_ci_u32_e32 v7, vcc_lo, 0, v12, vcc_lo
	v_add_co_u32 v4, vcc_lo, v4, v11
	v_add_co_ci_u32_e32 v9, vcc_lo, 0, v7, vcc_lo
	v_mul_lo_u32 v10, s29, v4
	v_mad_u64_u32 v[7:8], null, s28, v4, 0
	v_mul_lo_u32 v11, s28, v9
	v_sub_co_u32 v7, vcc_lo, v5, v7
	v_add3_u32 v8, v8, v11, v10
	v_sub_nc_u32_e32 v10, v6, v8
	v_subrev_co_ci_u32_e64 v10, s0, s29, v10, vcc_lo
	v_add_co_u32 v11, s0, v4, 2
	v_add_co_ci_u32_e64 v12, s0, 0, v9, s0
	v_sub_co_u32 v13, s0, v7, s28
	v_sub_co_ci_u32_e32 v8, vcc_lo, v6, v8, vcc_lo
	v_subrev_co_ci_u32_e64 v10, s0, 0, v10, s0
	v_cmp_le_u32_e32 vcc_lo, s28, v13
	v_cmp_eq_u32_e64 s0, s29, v8
	v_cndmask_b32_e64 v13, 0, -1, vcc_lo
	v_cmp_le_u32_e32 vcc_lo, s29, v10
	v_cndmask_b32_e64 v14, 0, -1, vcc_lo
	v_cmp_le_u32_e32 vcc_lo, s28, v7
	;; [unrolled: 2-line block ×3, first 2 shown]
	v_cndmask_b32_e64 v17, 0, -1, vcc_lo
	v_cmp_eq_u32_e32 vcc_lo, s29, v10
	v_cndmask_b32_e64 v7, v17, v7, s0
	v_cndmask_b32_e32 v10, v14, v13, vcc_lo
	v_add_co_u32 v13, vcc_lo, v4, 1
	v_add_co_ci_u32_e32 v14, vcc_lo, 0, v9, vcc_lo
	v_cmp_ne_u32_e32 vcc_lo, 0, v10
	v_cndmask_b32_e32 v8, v14, v12, vcc_lo
	v_cndmask_b32_e32 v10, v13, v11, vcc_lo
	v_cmp_ne_u32_e32 vcc_lo, 0, v7
	v_cndmask_b32_e32 v18, v9, v8, vcc_lo
	v_cndmask_b32_e32 v17, v4, v10, vcc_lo
.LBB0_4:                                ;   in Loop: Header=BB0_2 Depth=1
	s_andn2_saveexec_b32 s0, s1
	s_cbranch_execz .LBB0_6
; %bb.5:                                ;   in Loop: Header=BB0_2 Depth=1
	v_cvt_f32_u32_e32 v4, s28
	s_sub_i32 s1, 0, s28
	v_mov_b32_e32 v18, v3
	v_rcp_iflag_f32_e32 v4, v4
	v_mul_f32_e32 v4, 0x4f7ffffe, v4
	v_cvt_u32_f32_e32 v4, v4
	v_mul_lo_u32 v7, s1, v4
	v_mul_hi_u32 v7, v4, v7
	v_add_nc_u32_e32 v4, v4, v7
	v_mul_hi_u32 v4, v5, v4
	v_mul_lo_u32 v7, v4, s28
	v_add_nc_u32_e32 v8, 1, v4
	v_sub_nc_u32_e32 v7, v5, v7
	v_subrev_nc_u32_e32 v9, s28, v7
	v_cmp_le_u32_e32 vcc_lo, s28, v7
	v_cndmask_b32_e32 v7, v7, v9, vcc_lo
	v_cndmask_b32_e32 v4, v4, v8, vcc_lo
	v_cmp_le_u32_e32 vcc_lo, s28, v7
	v_add_nc_u32_e32 v8, 1, v4
	v_cndmask_b32_e32 v17, v4, v8, vcc_lo
.LBB0_6:                                ;   in Loop: Header=BB0_2 Depth=1
	s_or_b32 exec_lo, exec_lo, s0
	v_mul_lo_u32 v4, v18, s28
	v_mul_lo_u32 v9, v17, s29
	s_load_dwordx2 s[0:1], s[22:23], 0x0
	v_mad_u64_u32 v[7:8], null, v17, s28, 0
	s_load_dwordx2 s[28:29], s[6:7], 0x0
	s_add_u32 s26, s26, 1
	s_addc_u32 s27, s27, 0
	s_add_u32 s6, s6, 8
	s_addc_u32 s7, s7, 0
	s_add_u32 s22, s22, 8
	v_add3_u32 v4, v8, v9, v4
	v_sub_co_u32 v5, vcc_lo, v5, v7
	s_addc_u32 s23, s23, 0
	s_add_u32 s24, s24, 8
	v_sub_co_ci_u32_e32 v4, vcc_lo, v6, v4, vcc_lo
	s_addc_u32 s25, s25, 0
	s_waitcnt lgkmcnt(0)
	v_mul_lo_u32 v6, s0, v4
	v_mul_lo_u32 v7, s1, v5
	v_mad_u64_u32 v[1:2], null, s0, v5, v[1:2]
	v_mul_lo_u32 v4, s28, v4
	v_mul_lo_u32 v8, s29, v5
	v_mad_u64_u32 v[15:16], null, s28, v5, v[15:16]
	v_cmp_ge_u64_e64 s0, s[26:27], s[14:15]
	v_add3_u32 v2, v7, v2, v6
	v_add3_u32 v16, v8, v16, v4
	s_and_b32 vcc_lo, exec_lo, s0
	s_cbranch_vccnz .LBB0_9
; %bb.7:                                ;   in Loop: Header=BB0_2 Depth=1
	v_mov_b32_e32 v5, v17
	v_mov_b32_e32 v6, v18
	s_branch .LBB0_2
.LBB0_8:
	v_mov_b32_e32 v16, v2
	v_mov_b32_e32 v18, v6
	;; [unrolled: 1-line block ×4, first 2 shown]
.LBB0_9:
	s_load_dwordx2 s[0:1], s[4:5], 0x28
	v_mul_hi_u32 v34, 0x5555556, v0
	s_lshl_b64 s[6:7], s[14:15], 3
                                        ; implicit-def: $sgpr14
                                        ; implicit-def: $vgpr3
                                        ; implicit-def: $vgpr4
                                        ; implicit-def: $vgpr5
                                        ; implicit-def: $vgpr6
                                        ; implicit-def: $vgpr7
                                        ; implicit-def: $vgpr8
	s_add_u32 s4, s18, s6
	s_addc_u32 s5, s19, s7
	s_waitcnt lgkmcnt(0)
	v_cmp_gt_u64_e32 vcc_lo, s[0:1], v[17:18]
	v_cmp_le_u64_e64 s0, s[0:1], v[17:18]
	s_and_saveexec_b32 s1, s0
	s_xor_b32 s0, exec_lo, s1
; %bb.10:
	v_mul_u32_u24_e32 v1, 48, v34
	s_mov_b32 s14, 0
                                        ; implicit-def: $vgpr34
	v_sub_nc_u32_e32 v3, v0, v1
                                        ; implicit-def: $vgpr0
                                        ; implicit-def: $vgpr1_vgpr2
	v_add_nc_u32_e32 v4, 48, v3
	v_add_nc_u32_e32 v5, 0x60, v3
	;; [unrolled: 1-line block ×3, first 2 shown]
	v_or_b32_e32 v7, 0xc0, v3
	v_add_nc_u32_e32 v8, 0xf0, v3
; %bb.11:
	s_or_saveexec_b32 s1, s0
	v_mov_b32_e32 v19, s14
	v_mov_b32_e32 v13, s14
	v_mov_b32_e32 v29, s14
	v_mov_b32_e32 v26, s14
	v_mov_b32_e32 v25, s14
	v_mov_b32_e32 v20, s14
	v_mov_b32_e32 v12, s14
	v_mov_b32_e32 v10, s14
	v_mov_b32_e32 v9, s14
                                        ; implicit-def: $vgpr14
                                        ; implicit-def: $vgpr32
                                        ; implicit-def: $vgpr28
                                        ; implicit-def: $vgpr22
                                        ; implicit-def: $vgpr36
                                        ; implicit-def: $vgpr30
                                        ; implicit-def: $vgpr23
                                        ; implicit-def: $vgpr11
                                        ; implicit-def: $vgpr39
                                        ; implicit-def: $vgpr35
                                        ; implicit-def: $vgpr31
                                        ; implicit-def: $vgpr24
                                        ; implicit-def: $vgpr37
                                        ; implicit-def: $vgpr33
                                        ; implicit-def: $vgpr27
                                        ; implicit-def: $vgpr21
	s_xor_b32 exec_lo, exec_lo, s1
	s_cbranch_execz .LBB0_13
; %bb.12:
	s_add_u32 s6, s16, s6
	s_addc_u32 s7, s17, s7
	v_mul_u32_u24_e32 v3, 48, v34
	s_load_dwordx2 s[6:7], s[6:7], 0x0
	v_sub_nc_u32_e32 v3, v0, v3
	v_lshlrev_b64 v[0:1], 2, v[1:2]
	v_mad_u64_u32 v[8:9], null, s20, v3, 0
	v_add_nc_u32_e32 v4, 48, v3
	v_add_nc_u32_e32 v5, 0x60, v3
	;; [unrolled: 1-line block ×3, first 2 shown]
	v_or_b32_e32 v7, 0xc0, v3
	v_add_nc_u32_e32 v32, 0x150, v3
	v_mad_u64_u32 v[10:11], null, s20, v4, 0
	v_mov_b32_e32 v2, v9
	v_mad_u64_u32 v[12:13], null, s20, v5, 0
	s_waitcnt lgkmcnt(0)
	v_mul_lo_u32 v9, s7, v17
	v_mul_lo_u32 v14, s6, v18
	v_mad_u64_u32 v[19:20], null, s6, v17, 0
	v_mad_u64_u32 v[21:22], null, s21, v3, v[2:3]
	v_mov_b32_e32 v2, v11
	v_mov_b32_e32 v11, v13
	v_mad_u64_u32 v[22:23], null, s20, v6, 0
	v_add3_u32 v20, v20, v14, v9
	v_mad_u64_u32 v[13:14], null, s21, v4, v[2:3]
	v_mov_b32_e32 v9, v21
	v_mad_u64_u32 v[26:27], null, s21, v5, v[11:12]
	v_lshlrev_b64 v[19:20], 2, v[19:20]
	v_mov_b32_e32 v2, v23
	v_lshlrev_b64 v[8:9], 2, v[8:9]
	v_mov_b32_e32 v11, v13
	v_mad_u64_u32 v[24:25], null, s20, v7, 0
	v_add_co_u32 v14, s0, s8, v19
	v_add_co_ci_u32_e64 v19, s0, s9, v20, s0
	v_mov_b32_e32 v13, v26
	v_add_co_u32 v49, s0, v14, v0
	v_add_co_ci_u32_e64 v50, s0, v19, v1, s0
	v_lshlrev_b64 v[0:1], 2, v[10:11]
	v_add_co_u32 v19, s0, v49, v8
	v_add_co_ci_u32_e64 v20, s0, v50, v9, s0
	v_mad_u64_u32 v[9:10], null, s21, v6, v[2:3]
	v_lshlrev_b64 v[10:11], 2, v[12:13]
	v_add_co_u32 v0, s0, v49, v0
	v_add_nc_u32_e32 v8, 0xf0, v3
	v_add_co_ci_u32_e64 v1, s0, v50, v1, s0
	v_mov_b32_e32 v2, v25
	v_mov_b32_e32 v23, v9
	v_add_co_u32 v9, s0, v49, v10
	v_mad_u64_u32 v[12:13], null, s20, v8, 0
	v_add_co_ci_u32_e64 v10, s0, v50, v11, s0
	v_add_nc_u32_e32 v11, 0x120, v3
	v_mad_u64_u32 v[25:26], null, s21, v7, v[2:3]
	v_lshlrev_b64 v[21:22], 2, v[22:23]
	v_mov_b32_e32 v2, v13
	v_mad_u64_u32 v[26:27], null, s20, v11, 0
	v_add_nc_u32_e32 v35, 0x270, v3
	v_add_nc_u32_e32 v47, 0x2d0, v3
	v_add_co_u32 v28, s0, v49, v21
	v_add_co_ci_u32_e64 v29, s0, v50, v22, s0
	v_lshlrev_b64 v[21:22], 2, v[24:25]
	v_mad_u64_u32 v[23:24], null, s20, v32, 0
	v_mad_u64_u32 v[13:14], null, s21, v8, v[2:3]
	v_mov_b32_e32 v2, v27
	v_or_b32_e32 v25, 0x180, v3
	v_add_co_u32 v36, s0, v49, v21
	v_add_co_ci_u32_e64 v37, s0, v50, v22, s0
	v_mad_u64_u32 v[30:31], null, s21, v11, v[2:3]
	v_mov_b32_e32 v2, v24
	v_lshlrev_b64 v[11:12], 2, v[12:13]
	v_mad_u64_u32 v[13:14], null, s20, v25, 0
	v_mad_u64_u32 v[21:22], null, s21, v32, v[2:3]
	v_mov_b32_e32 v27, v30
	v_add_nc_u32_e32 v30, 0x1b0, v3
	v_add_co_u32 v38, s0, v49, v11
	v_add_co_ci_u32_e64 v39, s0, v50, v12, s0
	v_lshlrev_b64 v[11:12], 2, v[26:27]
	v_mov_b32_e32 v2, v14
	v_mov_b32_e32 v24, v21
	v_mad_u64_u32 v[21:22], null, s20, v30, 0
	v_add_nc_u32_e32 v27, 0x1e0, v3
	v_mad_u64_u32 v[25:26], null, s21, v25, v[2:3]
	v_add_co_u32 v40, s0, v49, v11
	v_add_co_ci_u32_e64 v41, s0, v50, v12, s0
	v_lshlrev_b64 v[11:12], 2, v[23:24]
	v_mov_b32_e32 v2, v22
	v_mad_u64_u32 v[23:24], null, s20, v27, 0
	v_mov_b32_e32 v14, v25
	v_or_b32_e32 v32, 0x240, v3
	v_mad_u64_u32 v[25:26], null, s21, v30, v[2:3]
	v_add_nc_u32_e32 v30, 0x210, v3
	v_add_co_u32 v42, s0, v49, v11
	v_mov_b32_e32 v2, v24
	v_add_co_ci_u32_e64 v43, s0, v50, v12, s0
	v_lshlrev_b64 v[11:12], 2, v[13:14]
	v_mov_b32_e32 v22, v25
	v_mad_u64_u32 v[13:14], null, s21, v27, v[2:3]
	v_mad_u64_u32 v[25:26], null, s20, v30, 0
	v_lshlrev_b64 v[21:22], 2, v[21:22]
	v_add_co_u32 v11, s0, v49, v11
	v_add_co_ci_u32_e64 v12, s0, v50, v12, s0
	v_mov_b32_e32 v24, v13
	v_mov_b32_e32 v2, v26
	v_mad_u64_u32 v[13:14], null, s20, v32, 0
	v_add_co_u32 v21, s0, v49, v21
	v_mad_u64_u32 v[26:27], null, s21, v30, v[2:3]
	v_mad_u64_u32 v[30:31], null, s20, v35, 0
	v_mov_b32_e32 v2, v14
	v_add_nc_u32_e32 v27, 0x2a0, v3
	v_lshlrev_b64 v[23:24], 2, v[23:24]
	v_add_co_ci_u32_e64 v22, s0, v50, v22, s0
	v_mad_u64_u32 v[32:33], null, s21, v32, v[2:3]
	v_mov_b32_e32 v2, v31
	v_mad_u64_u32 v[33:34], null, s20, v27, 0
	v_lshlrev_b64 v[25:26], 2, v[25:26]
	v_add_co_u32 v23, s0, v49, v23
	v_mad_u64_u32 v[44:45], null, s21, v35, v[2:3]
	v_mad_u64_u32 v[45:46], null, s20, v47, 0
	v_mov_b32_e32 v2, v34
	v_mov_b32_e32 v14, v32
	v_add_co_ci_u32_e64 v24, s0, v50, v24, s0
	v_mov_b32_e32 v31, v44
	v_mad_u64_u32 v[34:35], null, s21, v27, v[2:3]
	v_mov_b32_e32 v2, v46
	v_lshlrev_b64 v[13:14], 2, v[13:14]
	v_add_co_u32 v25, s0, v49, v25
	v_lshlrev_b64 v[30:31], 2, v[30:31]
	v_mad_u64_u32 v[46:47], null, s21, v47, v[2:3]
	v_add_co_ci_u32_e64 v26, s0, v50, v26, s0
	v_add_co_u32 v13, s0, v49, v13
	v_add_co_ci_u32_e64 v14, s0, v50, v14, s0
	v_lshlrev_b64 v[32:33], 2, v[33:34]
	v_add_co_u32 v47, s0, v49, v30
	v_add_co_ci_u32_e64 v48, s0, v50, v31, s0
	v_lshlrev_b64 v[30:31], 2, v[45:46]
	v_add_co_u32 v44, s0, v49, v32
	v_add_co_ci_u32_e64 v45, s0, v50, v33, s0
	v_add_co_u32 v49, s0, v49, v30
	v_add_co_ci_u32_e64 v50, s0, v50, v31, s0
	s_clause 0xf
	global_load_dword v32, v[11:12], off
	global_load_dword v22, v[21:22], off
	global_load_dword v30, v[23:24], off
	global_load_dword v11, v[25:26], off
	global_load_dword v35, v[13:14], off
	global_load_dword v24, v[47:48], off
	global_load_dword v33, v[44:45], off
	global_load_dword v21, v[49:50], off
	global_load_dword v13, v[19:20], off
	global_load_dword v20, v[0:1], off
	global_load_dword v26, v[9:10], off
	global_load_dword v10, v[28:29], off
	global_load_dword v29, v[36:37], off
	global_load_dword v12, v[38:39], off
	global_load_dword v25, v[40:41], off
	global_load_dword v9, v[42:43], off
	v_mov_b32_e32 v19, v3
	s_waitcnt vmcnt(15)
	v_lshrrev_b32_e32 v14, 16, v32
	s_waitcnt vmcnt(14)
	v_lshrrev_b32_e32 v28, 16, v22
	s_waitcnt vmcnt(13)
	v_lshrrev_b32_e32 v36, 16, v30
	s_waitcnt vmcnt(12)
	v_lshrrev_b32_e32 v23, 16, v11
	s_waitcnt vmcnt(11)
	v_lshrrev_b32_e32 v39, 16, v35
	s_waitcnt vmcnt(10)
	v_lshrrev_b32_e32 v31, 16, v24
	s_waitcnt vmcnt(9)
	v_lshrrev_b32_e32 v37, 16, v33
	s_waitcnt vmcnt(8)
	v_lshrrev_b32_e32 v27, 16, v21
.LBB0_13:
	s_or_b32 exec_lo, exec_lo, s1
	s_waitcnt vmcnt(3)
	v_lshrrev_b32_e32 v38, 16, v29
	v_lshrrev_b32_e32 v2, 16, v26
	v_sub_f16_e32 v1, v29, v35
	v_sub_f16_e32 v30, v26, v30
	s_waitcnt vmcnt(1)
	v_lshrrev_b32_e32 v35, 16, v25
	v_sub_f16_e32 v40, v38, v39
	v_sub_f16_e32 v34, v2, v36
	;; [unrolled: 1-line block ×3, first 2 shown]
	v_lshrrev_b32_e32 v39, 16, v10
	v_fma_f16 v26, v26, 2.0, -v30
	s_waitcnt vmcnt(0)
	v_lshrrev_b32_e32 v42, 16, v9
	v_fma_f16 v41, v2, 2.0, -v34
	v_sub_f16_e32 v2, v35, v37
	v_fma_f16 v25, v25, 2.0, -v33
	v_lshrrev_b32_e32 v37, 16, v12
	v_sub_f16_e32 v23, v39, v23
	v_sub_f16_e32 v0, v13, v32
	v_lshrrev_b32_e32 v36, 16, v20
	v_sub_f16_e32 v22, v20, v22
	v_sub_f16_e32 v31, v37, v31
	;; [unrolled: 1-line block ×4, first 2 shown]
	v_fma_f16 v43, v39, 2.0, -v23
	v_sub_f16_e32 v39, v26, v25
	v_sub_f16_e32 v24, v12, v24
	;; [unrolled: 1-line block ×4, first 2 shown]
	v_fma_f16 v35, v35, 2.0, -v2
	v_sub_f16_e32 v48, v0, v40
	v_fma_f16 v42, v42, 2.0, -v27
	v_sub_f16_e32 v55, v30, v2
	;; [unrolled: 2-line block ×3, first 2 shown]
	v_sub_f16_e32 v27, v11, v27
	v_fma_f16 v20, v20, 2.0, -v22
	v_fma_f16 v12, v12, 2.0, -v24
	;; [unrolled: 1-line block ×8, first 2 shown]
	v_sub_f16_e32 v45, v41, v35
	v_add_f16_e32 v35, v34, v33
	v_fma_f16 v56, v30, 2.0, -v55
	v_add_f16_e32 v24, v28, v24
	v_fma_f16 v22, v22, 2.0, -v26
	v_sub_f16_e32 v30, v43, v42
	v_add_f16_e32 v21, v23, v21
	v_fma_f16 v11, v11, 2.0, -v27
	v_sub_f16_e32 v12, v20, v12
	v_sub_f16_e32 v9, v10, v9
	;; [unrolled: 1-line block ×3, first 2 shown]
	v_fma_f16 v37, v34, 2.0, -v35
	v_fma_f16 v28, v28, 2.0, -v24
	v_fmamk_f16 v31, v56, 0xb9a8, v0
	v_fma_f16 v33, v43, 2.0, -v30
	v_fma_f16 v23, v23, 2.0, -v21
	v_fmamk_f16 v43, v11, 0xb9a8, v22
	v_fma_f16 v29, v29, 2.0, -v1
	v_fma_f16 v20, v20, 2.0, -v12
	;; [unrolled: 1-line block ×3, first 2 shown]
	v_fmac_f16_e32 v31, 0xb9a8, v37
	v_fmamk_f16 v34, v55, 0x39a8, v48
	v_fmamk_f16 v44, v23, 0xb9a8, v28
	v_fmac_f16_e32 v43, 0xb9a8, v23
	v_sub_f16_e32 v29, v32, v29
	v_sub_f16_e32 v47, v20, v10
	v_fmamk_f16 v49, v27, 0x39a8, v26
	v_fma_f16 v0, v0, 2.0, -v31
	v_fmac_f16_e32 v34, 0xb9a8, v35
	v_fmac_f16_e32 v44, 0x39a8, v11
	v_fma_f16 v42, v22, 2.0, -v43
	v_fma_f16 v32, v32, 2.0, -v29
	;; [unrolled: 1-line block ×3, first 2 shown]
	v_sub_f16_e32 v36, v29, v45
	v_fma_f16 v11, v20, 2.0, -v47
	v_sub_f16_e32 v20, v12, v30
	v_fmamk_f16 v50, v21, 0x39a8, v24
	v_fmac_f16_e32 v49, 0xb9a8, v21
	v_fma_f16 v10, v48, 2.0, -v34
	v_add_f16_e32 v60, v25, v9
	v_fma_f16 v48, v28, 2.0, -v44
	v_fmamk_f16 v9, v42, 0xbb64, v0
	v_sub_f16_e32 v2, v32, v2
	v_fma_f16 v29, v29, 2.0, -v36
	v_fma_f16 v57, v12, 2.0, -v20
	v_fmac_f16_e32 v50, 0x39a8, v27
	v_fma_f16 v51, v26, 2.0, -v49
	v_fmac_f16_e32 v9, 0xb61f, v48
	v_fma_f16 v32, v32, 2.0, -v2
	v_fma_f16 v63, v25, 2.0, -v60
	v_fmamk_f16 v12, v57, 0xb9a8, v29
	v_fma_f16 v53, v24, 2.0, -v50
	v_fmamk_f16 v23, v51, 0xb61f, v10
	v_sub_f16_e32 v54, v46, v33
	v_fma_f16 v22, v0, 2.0, -v9
	v_fmamk_f16 v25, v20, 0x39a8, v36
	v_fmamk_f16 v0, v49, 0x3b64, v34
	;; [unrolled: 1-line block ×3, first 2 shown]
	v_sub_f16_e32 v11, v32, v11
	v_fmac_f16_e32 v12, 0xb9a8, v63
	v_fmac_f16_e32 v23, 0xbb64, v53
	v_sub_f16_e32 v27, v2, v54
	v_fmac_f16_e32 v25, 0xb9a8, v60
	v_fmac_f16_e32 v0, 0xb61f, v50
	;; [unrolled: 1-line block ×3, first 2 shown]
	v_fma_f16 v21, v32, 2.0, -v11
	v_fma_f16 v24, v29, 2.0, -v12
	;; [unrolled: 1-line block ×7, first 2 shown]
	v_lshl_add_u32 v52, v3, 5, 0
	v_pack_b32_f16 v10, v24, v10
	v_pack_b32_f16 v21, v21, v22
	;; [unrolled: 1-line block ×8, first 2 shown]
	s_load_dwordx2 s[4:5], s[4:5], 0x0
	ds_write2_b32 v52, v21, v10 offset1:1
	ds_write2_b32 v52, v2, v22 offset0:2 offset1:3
	ds_write2_b32 v52, v9, v12 offset0:4 offset1:5
	;; [unrolled: 1-line block ×3, first 2 shown]
	v_mad_i32_i24 v21, 0xffffffe2, v3, v52
	v_lshl_add_u32 v22, v4, 1, 0
	v_lshl_add_u32 v23, v5, 1, 0
	;; [unrolled: 1-line block ×3, first 2 shown]
	s_waitcnt lgkmcnt(0)
	s_barrier
	buffer_gl0_inv
	ds_read_u16 v30, v21 offset:512
	ds_read_u16 v27, v21 offset:608
	;; [unrolled: 1-line block ×3, first 2 shown]
	v_lshl_add_u32 v25, v7, 1, 0
	ds_read_u16 v11, v22
	ds_read_u16 v10, v23
	;; [unrolled: 1-line block ×3, first 2 shown]
	ds_read_u16 v28, v21 offset:800
	ds_read_u16 v12, v21
	ds_read_u16 v9, v25
	ds_read_u16 v34, v21 offset:1120
	ds_read_u16 v33, v21 offset:1216
	ds_read_u16 v31, v21 offset:1312
	ds_read_u16 v29, v21 offset:1408
	ds_read_u16 v36, v21 offset:1024
	ds_read_u16 v32, v21 offset:896
	v_mul_i32_i24_e32 v21, 0xffffffe2, v3
	v_mul_f16_e32 v58, 0x39a8, v56
	v_mul_f16_e32 v61, 0x39a8, v37
	;; [unrolled: 1-line block ×8, first 2 shown]
	v_cmp_gt_u32_e64 s0, 16, v3
	v_add_nc_u32_e32 v20, v52, v21
	v_lshl_add_u32 v21, v8, 1, 0
                                        ; implicit-def: $vgpr35
                                        ; implicit-def: $vgpr37
	s_and_saveexec_b32 s1, s0
	s_cbranch_execz .LBB0_15
; %bb.14:
	ds_read_u16 v37, v20 offset:992
	ds_read_u16 v0, v21
	ds_read_u16 v35, v20 offset:1504
.LBB0_15:
	s_or_b32 exec_lo, exec_lo, s1
	v_lshrrev_b32_e32 v8, 16, v13
	s_waitcnt lgkmcnt(0)
	s_barrier
	buffer_gl0_inv
	v_sub_f16_e32 v13, v8, v14
	v_fma_f16 v14, v38, 2.0, -v40
	v_fma_f16 v38, v41, 2.0, -v45
	;; [unrolled: 1-line block ×3, first 2 shown]
	v_add_f16_e32 v1, v13, v1
	v_fma_f16 v8, v8, 2.0, -v13
	v_fma_f16 v13, v13, 2.0, -v1
	v_sub_f16_e32 v14, v8, v14
	v_add_f16_e32 v41, v1, v62
	v_sub_f16_e32 v45, v13, v61
	v_fma_f16 v8, v8, 2.0, -v14
	v_add_f16_e32 v39, v14, v39
	v_add_f16_e32 v41, v59, v41
	v_add_f16_e32 v45, v58, v45
	v_sub_f16_e32 v38, v8, v38
	v_fma_f16 v14, v14, 2.0, -v39
	v_fma_f16 v46, v1, 2.0, -v41
	v_add_f16_e32 v54, v39, v60
	v_fma_f16 v13, v13, 2.0, -v45
	v_fmamk_f16 v1, v50, 0x3b64, v41
	v_fmamk_f16 v44, v44, 0x361f, v45
	v_fma_f16 v8, v8, 2.0, -v38
	v_sub_f16_e32 v50, v14, v57
	v_fmamk_f16 v53, v53, 0xb61f, v46
	v_fmamk_f16 v48, v48, 0xbb64, v13
	v_add_f16_e32 v47, v38, v47
	v_add_f16_e32 v54, v56, v54
	v_fmac_f16_e32 v1, 0x361f, v49
	v_fmac_f16_e32 v44, 0x3b64, v43
	v_sub_f16_e32 v40, v8, v40
	v_add_f16_e32 v49, v55, v50
	v_fmac_f16_e32 v53, 0x3b64, v51
	v_fmac_f16_e32 v48, 0x361f, v42
	v_fma_f16 v38, v38, 2.0, -v47
	v_fma_f16 v39, v39, 2.0, -v54
	;; [unrolled: 1-line block ×8, first 2 shown]
	v_pack_b32_f16 v39, v39, v41
	v_pack_b32_f16 v38, v38, v45
	;; [unrolled: 1-line block ×8, first 2 shown]
	ds_write2_b32 v52, v38, v39 offset0:2 offset1:3
	ds_write2_b32 v52, v40, v41 offset0:4 offset1:5
	ds_write2_b32 v52, v8, v14 offset1:1
	ds_write2_b32 v52, v13, v43 offset0:6 offset1:7
	s_waitcnt lgkmcnt(0)
	s_barrier
	buffer_gl0_inv
	ds_read_u16 v41, v20 offset:512
	ds_read_u16 v39, v20 offset:608
	;; [unrolled: 1-line block ×3, first 2 shown]
	ds_read_u16 v42, v22
	ds_read_u16 v13, v23
	;; [unrolled: 1-line block ×3, first 2 shown]
	ds_read_u16 v40, v20 offset:800
	ds_read_u16 v43, v20
	ds_read_u16 v14, v25
	ds_read_u16 v50, v20 offset:1120
	ds_read_u16 v48, v20 offset:1216
	;; [unrolled: 1-line block ×6, first 2 shown]
                                        ; implicit-def: $vgpr47
                                        ; implicit-def: $vgpr49
	s_and_saveexec_b32 s1, s0
	s_cbranch_execz .LBB0_17
; %bb.16:
	ds_read_u16 v49, v20 offset:992
	ds_read_u16 v1, v21
	ds_read_u16 v47, v20 offset:1504
.LBB0_17:
	s_or_b32 exec_lo, exec_lo, s1
	v_lshlrev_b32_e32 v52, 3, v3
	v_and_b32_e32 v53, 15, v3
	v_lshrrev_b32_e32 v5, 4, v5
	v_lshrrev_b32_e32 v7, 4, v7
	;; [unrolled: 1-line block ×3, first 2 shown]
	v_and_b32_e32 v52, 0x78, v52
	v_lshlrev_b32_e32 v55, 3, v53
	v_mul_lo_u32 v5, v5, 48
	v_mul_lo_u32 v7, v7, 48
	;; [unrolled: 1-line block ×3, first 2 shown]
	s_clause 0x4
	global_load_dword v67, v52, s[12:13]
	global_load_dword v54, v52, s[12:13] offset:2
	global_load_dword v68, v52, s[12:13] offset:4
	global_load_ushort v66, v52, s[12:13] offset:6
	global_load_ushort v69, v55, s[12:13]
	v_lshrrev_b32_e32 v55, 4, v4
	v_lshrrev_b32_e32 v52, 4, v3
	v_lshl_add_u32 v4, v3, 1, 0
	v_or_b32_e32 v5, v5, v53
	v_or_b32_e32 v56, v7, v53
	v_mul_lo_u32 v55, v55, 48
	v_mul_u32_u24_e32 v52, 48, v52
	v_or_b32_e32 v6, v6, v53
	v_lshl_add_u32 v7, v5, 1, 0
	v_lshl_add_u32 v5, v56, 1, 0
	s_waitcnt vmcnt(0) lgkmcnt(0)
	v_or_b32_e32 v52, v52, v53
	v_lshl_add_u32 v6, v6, 1, 0
	v_or_b32_e32 v55, v55, v53
	s_barrier
	buffer_gl0_inv
	v_lshl_add_u32 v53, v52, 1, 0
	v_lshl_add_u32 v52, v55, 1, 0
	v_mul_f16_sdwa v70, v41, v67 dst_sel:DWORD dst_unused:UNUSED_PAD src0_sel:DWORD src1_sel:WORD_1
	v_mul_f16_sdwa v65, v30, v67 dst_sel:DWORD dst_unused:UNUSED_PAD src0_sel:DWORD src1_sel:WORD_1
	v_lshrrev_b32_e32 v71, 16, v54
	v_mul_f16_sdwa v72, v51, v68 dst_sel:DWORD dst_unused:UNUSED_PAD src0_sel:DWORD src1_sel:WORD_1
	v_mul_f16_sdwa v73, v39, v67 dst_sel:DWORD dst_unused:UNUSED_PAD src0_sel:DWORD src1_sel:WORD_1
	;; [unrolled: 1-line block ×10, first 2 shown]
	v_mul_f16_e32 v81, v49, v54
	v_mul_f16_e32 v55, v37, v54
	;; [unrolled: 1-line block ×4, first 2 shown]
	v_fma_f16 v66, v30, v69, -v70
	v_fmac_f16_e32 v65, v41, v69
	v_fma_f16 v41, v36, v71, -v72
	v_mul_f16_sdwa v64, v27, v67 dst_sel:DWORD dst_unused:UNUSED_PAD src0_sel:DWORD src1_sel:WORD_1
	v_mul_f16_sdwa v59, v34, v68 dst_sel:DWORD dst_unused:UNUSED_PAD src0_sel:DWORD src1_sel:WORD_1
	;; [unrolled: 1-line block ×3, first 2 shown]
	v_fma_f16 v36, v27, v69, -v73
	v_fma_f16 v34, v34, v71, -v74
	v_mul_f16_sdwa v63, v33, v68 dst_sel:DWORD dst_unused:UNUSED_PAD src0_sel:DWORD src1_sel:WORD_1
	v_mul_f16_sdwa v56, v28, v67 dst_sel:DWORD dst_unused:UNUSED_PAD src0_sel:DWORD src1_sel:WORD_1
	;; [unrolled: 1-line block ×5, first 2 shown]
	v_fma_f16 v30, v26, v69, -v75
	v_fma_f16 v33, v33, v71, -v76
	v_fma_f16 v26, v28, v69, -v77
	v_fma_f16 v28, v31, v71, -v78
	v_fma_f16 v27, v32, v69, -v79
	v_fma_f16 v29, v29, v71, -v80
	v_fmac_f16_e32 v60, v51, v71
	v_add_f16_e32 v32, v66, v41
	v_fmac_f16_e32 v64, v39, v69
	v_fmac_f16_e32 v59, v50, v71
	;; [unrolled: 1-line block ×3, first 2 shown]
	v_add_f16_e32 v38, v36, v34
	v_fmac_f16_e32 v63, v48, v71
	v_fmac_f16_e32 v56, v40, v69
	;; [unrolled: 1-line block ×5, first 2 shown]
	v_fma_f16 v44, v37, v67, -v81
	v_fmac_f16_e32 v55, v49, v67
	v_add_f16_e32 v31, v12, v66
	v_add_f16_e32 v46, v30, v33
	;; [unrolled: 1-line block ×4, first 2 shown]
	v_fma_f16 v45, v35, v68, -v82
	v_sub_f16_e32 v35, v65, v60
	v_fmac_f16_e32 v12, -0.5, v32
	v_add_f16_e32 v37, v11, v36
	v_sub_f16_e32 v39, v64, v59
	v_fmac_f16_e32 v11, -0.5, v38
	v_fmac_f16_e32 v54, v47, v68
	v_add_f16_e32 v40, v10, v30
	v_sub_f16_e32 v47, v61, v63
	v_add_f16_e32 v48, v2, v26
	v_sub_f16_e32 v50, v56, v57
	;; [unrolled: 2-line block ×3, first 2 shown]
	v_add_f16_e32 v31, v31, v41
	v_fmac_f16_e32 v10, -0.5, v46
	v_fmac_f16_e32 v2, -0.5, v49
	;; [unrolled: 1-line block ×3, first 2 shown]
	v_fmamk_f16 v46, v35, 0x3aee, v12
	v_fmac_f16_e32 v12, 0xbaee, v35
	v_add_f16_e32 v32, v37, v34
	v_fmamk_f16 v35, v39, 0x3aee, v11
	v_add_f16_e32 v37, v40, v33
	v_add_f16_e32 v38, v48, v28
	;; [unrolled: 1-line block ×3, first 2 shown]
	v_fmac_f16_e32 v11, 0xbaee, v39
	v_fmamk_f16 v39, v47, 0x3aee, v10
	v_fmac_f16_e32 v10, 0xbaee, v47
	v_fmamk_f16 v47, v50, 0x3aee, v2
	;; [unrolled: 2-line block ×3, first 2 shown]
	v_fmac_f16_e32 v9, 0xbaee, v68
	ds_write_b16 v53, v31
	ds_write_b16 v53, v46 offset:32
	ds_write_b16 v53, v12 offset:64
	ds_write_b16 v52, v32
	ds_write_b16 v52, v35 offset:32
	ds_write_b16 v52, v11 offset:64
	;; [unrolled: 3-line block ×5, first 2 shown]
	s_and_saveexec_b32 s1, s0
	s_cbranch_execz .LBB0_19
; %bb.18:
	v_add_f16_e32 v2, v44, v45
	v_add_f16_e32 v10, v0, v44
	v_sub_f16_e32 v9, v55, v54
	v_fma_f16 v0, -0.5, v2, v0
	v_add_f16_e32 v2, v10, v45
	v_fmamk_f16 v10, v9, 0xbaee, v0
	v_fmac_f16_e32 v0, 0x3aee, v9
	ds_write_b16 v4, v2 offset:1440
	ds_write_b16 v4, v0 offset:1472
	;; [unrolled: 1-line block ×3, first 2 shown]
.LBB0_19:
	s_or_b32 exec_lo, exec_lo, s1
	v_add_f16_e32 v0, v65, v60
	v_add_f16_e32 v2, v43, v65
	v_sub_f16_e32 v9, v66, v41
	v_add_f16_e32 v10, v64, v59
	v_add_f16_e32 v11, v61, v63
	v_fmac_f16_e32 v43, -0.5, v0
	v_add_f16_e32 v0, v42, v64
	v_add_f16_e32 v12, v13, v61
	v_fmac_f16_e32 v42, -0.5, v10
	v_fmac_f16_e32 v13, -0.5, v11
	v_fmamk_f16 v10, v9, 0xbaee, v43
	v_fmac_f16_e32 v43, 0x3aee, v9
	v_sub_f16_e32 v9, v36, v34
	v_sub_f16_e32 v11, v30, v33
	v_add_f16_e32 v30, v8, v56
	s_waitcnt lgkmcnt(0)
	s_barrier
	v_fmamk_f16 v46, v9, 0xbaee, v42
	v_fmac_f16_e32 v42, 0x3aee, v9
	v_add_f16_e32 v9, v12, v63
	v_add_f16_e32 v12, v56, v57
	v_fmamk_f16 v47, v11, 0xbaee, v13
	v_fmac_f16_e32 v13, 0x3aee, v11
	v_add_f16_e32 v11, v62, v58
	v_add_f16_e32 v48, v30, v57
	v_fmac_f16_e32 v8, -0.5, v12
	v_sub_f16_e32 v12, v26, v28
	v_add_f16_e32 v26, v14, v62
	v_fmac_f16_e32 v14, -0.5, v11
	v_sub_f16_e32 v11, v27, v29
	buffer_gl0_inv
	v_fmamk_f16 v49, v12, 0xbaee, v8
	v_fmac_f16_e32 v8, 0x3aee, v12
	v_add_f16_e32 v12, v26, v58
	ds_read_u16 v28, v22
	ds_read_u16 v36, v23
	;; [unrolled: 1-line block ×3, first 2 shown]
	ds_read_u16 v35, v20 offset:576
	ds_read_u16 v31, v20 offset:672
	;; [unrolled: 1-line block ×3, first 2 shown]
	ds_read_u16 v26, v20
	ds_read_u16 v27, v25
	ds_read_u16 v34, v20 offset:864
	ds_read_u16 v38, v20 offset:960
	ds_read_u16 v37, v20 offset:1056
	ds_read_u16 v29, v20 offset:1152
	ds_read_u16 v39, v20 offset:1248
	ds_read_u16 v41, v20 offset:1344
	ds_read_u16 v33, v21
	ds_read_u16 v40, v20 offset:1440
	v_add_f16_e32 v2, v2, v60
	v_add_f16_e32 v0, v0, v59
	v_fmamk_f16 v50, v11, 0xbaee, v14
	v_fmac_f16_e32 v14, 0x3aee, v11
	s_waitcnt lgkmcnt(0)
	s_barrier
	buffer_gl0_inv
	ds_write_b16 v53, v2
	ds_write_b16 v53, v10 offset:32
	ds_write_b16 v53, v43 offset:64
	ds_write_b16 v52, v0
	ds_write_b16 v52, v46 offset:32
	ds_write_b16 v52, v42 offset:64
	;; [unrolled: 3-line block ×5, first 2 shown]
	s_and_saveexec_b32 s1, s0
	s_cbranch_execz .LBB0_21
; %bb.20:
	v_add_f16_e32 v0, v55, v54
	v_add_f16_e32 v2, v1, v55
	v_sub_f16_e32 v5, v44, v45
	v_fmac_f16_e32 v1, -0.5, v0
	v_add_f16_e32 v0, v2, v54
	v_fmamk_f16 v2, v5, 0xbaee, v1
	v_fmamk_f16 v1, v5, 0x3aee, v1
	ds_write_b16 v4, v0 offset:1440
	ds_write_b16 v4, v2 offset:1472
	;; [unrolled: 1-line block ×3, first 2 shown]
.LBB0_21:
	s_or_b32 exec_lo, exec_lo, s1
	s_waitcnt lgkmcnt(0)
	s_barrier
	buffer_gl0_inv
	s_and_saveexec_b32 s0, vcc_lo
	s_cbranch_execz .LBB0_23
; %bb.22:
	v_mul_u32_u24_e32 v0, 15, v3
	v_mul_lo_u32 v60, s5, v17
	v_mul_lo_u32 v61, s4, v18
	v_mad_u64_u32 v[17:18], null, s4, v17, 0
	v_lshlrev_b32_e32 v8, 2, v0
	v_mad_u64_u32 v[42:43], null, s2, v19, 0
	v_add_nc_u32_e32 v64, 0x90, v19
	v_or_b32_e32 v65, 0xc0, v19
	s_clause 0x3
	global_load_dwordx3 v[12:14], v8, s[12:13] offset:176
	global_load_dwordx4 v[0:3], v8, s[12:13] offset:144
	global_load_dwordx4 v[4:7], v8, s[12:13] offset:128
	;; [unrolled: 1-line block ×3, first 2 shown]
	v_add_nc_u32_e32 v66, 0xf0, v19
	v_add_nc_u32_e32 v62, 48, v19
	;; [unrolled: 1-line block ×5, first 2 shown]
	v_mad_u64_u32 v[44:45], null, s2, v64, 0
	v_or_b32_e32 v69, 0x180, v19
	v_add_nc_u32_e32 v74, 0x1b0, v19
	v_mad_u64_u32 v[46:47], null, s2, v65, 0
	v_add3_u32 v18, v18, v61, v60
	ds_read_u16 v70, v25
	ds_read_u16 v71, v24
	ds_read_u16 v72, v23
	ds_read_u16 v73, v22
	v_mad_u64_u32 v[48:49], null, s2, v66, 0
	v_mov_b32_e32 v25, v43
	ds_read_u16 v76, v21
	ds_read_u16 v77, v20 offset:1440
	ds_read_u16 v78, v20 offset:1344
	;; [unrolled: 1-line block ×3, first 2 shown]
	v_mad_u64_u32 v[21:22], null, s2, v62, 0
	v_mad_u64_u32 v[23:24], null, s2, v63, 0
	;; [unrolled: 1-line block ×6, first 2 shown]
	v_lshlrev_b64 v[17:18], 2, v[17:18]
	v_mad_u64_u32 v[60:61], null, s3, v19, v[25:26]
	v_mov_b32_e32 v25, v45
	v_add_nc_u32_e32 v75, 0x1e0, v19
	v_mov_b32_e32 v43, v47
	v_mov_b32_e32 v45, v49
	v_lshlrev_b64 v[15:16], 2, v[15:16]
	v_mov_b32_e32 v47, v51
	v_mad_u64_u32 v[61:62], null, s3, v62, v[22:23]
	v_mov_b32_e32 v22, v53
	v_mad_u64_u32 v[62:63], null, s3, v63, v[24:25]
	v_add_co_u32 v17, vcc_lo, s10, v17
	v_mad_u64_u32 v[63:64], null, s3, v64, v[25:26]
	v_mov_b32_e32 v24, v55
	v_mov_b32_e32 v25, v57
	v_mad_u64_u32 v[58:59], null, s2, v75, 0
	v_mad_u64_u32 v[64:65], null, s3, v65, v[43:44]
	v_add_co_ci_u32_e32 v18, vcc_lo, s11, v18, vcc_lo
	v_mad_u64_u32 v[65:66], null, s3, v66, v[45:46]
	v_mad_u64_u32 v[66:67], null, s3, v67, v[47:48]
	;; [unrolled: 1-line block ×3, first 2 shown]
	v_mov_b32_e32 v43, v60
	v_add_co_u32 v60, vcc_lo, v17, v15
	v_mad_u64_u32 v[68:69], null, s3, v69, v[24:25]
	v_add_co_ci_u32_e32 v69, vcc_lo, v18, v16, vcc_lo
	v_mad_u64_u32 v[16:17], null, s3, v74, v[25:26]
	ds_read_u16 v80, v20 offset:1152
	ds_read_u16 v81, v20 offset:1056
	;; [unrolled: 1-line block ×7, first 2 shown]
	ds_read_u16 v87, v20
	v_mov_b32_e32 v15, v59
	v_mov_b32_e32 v22, v61
	;; [unrolled: 1-line block ×5, first 2 shown]
	v_mad_u64_u32 v[17:18], null, s3, v75, v[15:16]
	v_mov_b32_e32 v49, v65
	v_mov_b32_e32 v51, v66
	v_mov_b32_e32 v53, v67
	v_mov_b32_e32 v55, v68
	v_mov_b32_e32 v57, v16
	v_lshlrev_b64 v[15:16], 2, v[21:22]
	v_mov_b32_e32 v59, v17
	v_lshlrev_b64 v[17:18], 2, v[23:24]
	v_lshlrev_b64 v[20:21], 2, v[44:45]
	;; [unrolled: 1-line block ×9, first 2 shown]
	v_add_nc_u32_e32 v61, 0x210, v19
	v_add_co_u32 v42, vcc_lo, v60, v42
	v_add_co_ci_u32_e32 v43, vcc_lo, v69, v43, vcc_lo
	v_add_co_u32 v15, vcc_lo, v60, v15
	v_add_co_ci_u32_e32 v16, vcc_lo, v69, v16, vcc_lo
	;; [unrolled: 2-line block ×10, first 2 shown]
	s_waitcnt vmcnt(3)
	v_mul_f16_sdwa v52, v41, v13 dst_sel:DWORD dst_unused:UNUSED_PAD src0_sel:DWORD src1_sel:WORD_1
	s_waitcnt lgkmcnt(9)
	v_mul_f16_sdwa v53, v78, v13 dst_sel:DWORD dst_unused:UNUSED_PAD src0_sel:DWORD src1_sel:WORD_1
	v_mul_f16_sdwa v54, v39, v12 dst_sel:DWORD dst_unused:UNUSED_PAD src0_sel:DWORD src1_sel:WORD_1
	;; [unrolled: 1-line block ×4, first 2 shown]
	s_waitcnt lgkmcnt(8)
	v_mul_f16_sdwa v57, v79, v12 dst_sel:DWORD dst_unused:UNUSED_PAD src0_sel:DWORD src1_sel:WORD_1
	s_waitcnt vmcnt(1)
	v_mul_f16_sdwa v63, v72, v5 dst_sel:DWORD dst_unused:UNUSED_PAD src0_sel:DWORD src1_sel:WORD_1
	s_waitcnt vmcnt(0) lgkmcnt(5)
	v_mul_f16_sdwa v65, v82, v9 dst_sel:DWORD dst_unused:UNUSED_PAD src0_sel:DWORD src1_sel:WORD_1
	s_waitcnt lgkmcnt(3)
	v_mul_f16_sdwa v62, v84, v3 dst_sel:DWORD dst_unused:UNUSED_PAD src0_sel:DWORD src1_sel:WORD_1
	v_mul_f16_sdwa v64, v27, v7 dst_sel:DWORD dst_unused:UNUSED_PAD src0_sel:DWORD src1_sel:WORD_1
	;; [unrolled: 1-line block ×6, first 2 shown]
	s_waitcnt lgkmcnt(1)
	v_mul_f16_sdwa v75, v86, v1 dst_sel:DWORD dst_unused:UNUSED_PAD src0_sel:DWORD src1_sel:WORD_1
	v_mul_f16_sdwa v88, v71, v6 dst_sel:DWORD dst_unused:UNUSED_PAD src0_sel:DWORD src1_sel:WORD_1
	;; [unrolled: 1-line block ×5, first 2 shown]
	v_fmac_f16_e32 v52, v78, v13
	v_mul_f16_sdwa v78, v37, v10 dst_sel:DWORD dst_unused:UNUSED_PAD src0_sel:DWORD src1_sel:WORD_1
	v_fma_f16 v13, v41, v13, -v53
	v_mul_f16_sdwa v41, v85, v2 dst_sel:DWORD dst_unused:UNUSED_PAD src0_sel:DWORD src1_sel:WORD_1
	v_fmac_f16_e32 v54, v79, v12
	v_mul_f16_sdwa v53, v73, v4 dst_sel:DWORD dst_unused:UNUSED_PAD src0_sel:DWORD src1_sel:WORD_1
	v_fmac_f16_e32 v55, v77, v14
	v_mul_f16_sdwa v77, v83, v8 dst_sel:DWORD dst_unused:UNUSED_PAD src0_sel:DWORD src1_sel:WORD_1
	v_fma_f16 v14, v40, v14, -v56
	v_mul_f16_sdwa v40, v33, v0 dst_sel:DWORD dst_unused:UNUSED_PAD src0_sel:DWORD src1_sel:WORD_1
	v_fma_f16 v12, v39, v12, -v57
	v_mul_f16_sdwa v39, v28, v4 dst_sel:DWORD dst_unused:UNUSED_PAD src0_sel:DWORD src1_sel:WORD_1
	v_mul_f16_sdwa v56, v34, v8 dst_sel:DWORD dst_unused:UNUSED_PAD src0_sel:DWORD src1_sel:WORD_1
	;; [unrolled: 1-line block ×4, first 2 shown]
	v_fma_f16 v36, v36, v5, -v63
	v_mul_f16_sdwa v63, v70, v7 dst_sel:DWORD dst_unused:UNUSED_PAD src0_sel:DWORD src1_sel:WORD_1
	v_fma_f16 v38, v38, v9, -v65
	v_mul_f16_sdwa v65, v80, v11 dst_sel:DWORD dst_unused:UNUSED_PAD src0_sel:DWORD src1_sel:WORD_1
	v_fmac_f16_e32 v67, v86, v1
	v_fmac_f16_e32 v68, v5, v72
	;; [unrolled: 1-line block ×3, first 2 shown]
	v_fma_f16 v1, v35, v1, -v75
	v_fma_f16 v5, v32, v6, -v88
	;; [unrolled: 1-line block ×3, first 2 shown]
	v_fmac_f16_e32 v90, v85, v2
	v_fmac_f16_e32 v91, v6, v71
	;; [unrolled: 1-line block ×3, first 2 shown]
	v_fma_f16 v2, v31, v2, -v41
	v_fma_f16 v6, v28, v4, -v53
	;; [unrolled: 1-line block ×3, first 2 shown]
	v_fmac_f16_e32 v40, v76, v0
	v_fma_f16 v28, v30, v3, -v62
	v_fmac_f16_e32 v64, v70, v7
	v_fmac_f16_e32 v66, v80, v11
	;; [unrolled: 1-line block ×4, first 2 shown]
	v_fma_f16 v0, v33, v0, -v57
	v_fmac_f16_e32 v79, v3, v84
	v_fma_f16 v3, v27, v7, -v63
	v_fma_f16 v4, v29, v11, -v65
	v_sub_f16_e32 v7, v26, v28
	v_sub_f16_e32 v8, v64, v66
	;; [unrolled: 1-line block ×14, first 2 shown]
	s_waitcnt lgkmcnt(0)
	v_sub_f16_e32 v33, v87, v79
	v_sub_f16_e32 v4, v3, v4
	;; [unrolled: 1-line block ×4, first 2 shown]
	v_add_f16_e32 v37, v28, v13
	v_sub_f16_e32 v38, v10, v29
	v_sub_f16_e32 v41, v9, v30
	v_add_f16_e32 v52, v31, v14
	v_add_f16_e32 v53, v32, v12
	;; [unrolled: 1-line block ×3, first 2 shown]
	v_fma_f16 v26, v26, 2.0, -v7
	v_fma_f16 v3, v3, 2.0, -v4
	;; [unrolled: 1-line block ×24, first 2 shown]
	v_fmamk_f16 v33, v35, 0x39a8, v34
	v_fmamk_f16 v40, v41, 0x39a8, v38
	;; [unrolled: 1-line block ×4, first 2 shown]
	v_sub_f16_e32 v3, v26, v3
	v_sub_f16_e32 v27, v4, v27
	;; [unrolled: 1-line block ×8, first 2 shown]
	v_fmamk_f16 v57, v11, 0xb9a8, v7
	v_fmamk_f16 v62, v9, 0xb9a8, v10
	;; [unrolled: 1-line block ×4, first 2 shown]
	v_fmac_f16_e32 v33, 0xb9a8, v37
	v_fmac_f16_e32 v40, 0xb9a8, v52
	;; [unrolled: 1-line block ×4, first 2 shown]
	v_sub_f16_e32 v35, v3, v27
	v_sub_f16_e32 v37, v0, v30
	v_add_f16_e32 v41, v29, v2
	v_add_f16_e32 v52, v1, v8
	v_fma_f16 v26, v26, 2.0, -v3
	v_fma_f16 v1, v36, 2.0, -v1
	;; [unrolled: 1-line block ×8, first 2 shown]
	v_fmac_f16_e32 v57, 0xb9a8, v13
	v_fmac_f16_e32 v62, 0xb9a8, v28
	;; [unrolled: 1-line block ×4, first 2 shown]
	v_fmamk_f16 v27, v40, 0x3b64, v33
	v_fmamk_f16 v28, v55, 0x3b64, v56
	;; [unrolled: 1-line block ×3, first 2 shown]
	v_fma_f16 v3, v3, 2.0, -v35
	v_fma_f16 v0, v0, 2.0, -v37
	;; [unrolled: 1-line block ×4, first 2 shown]
	v_sub_f16_e32 v1, v26, v1
	v_sub_f16_e32 v12, v36, v12
	v_sub_f16_e32 v4, v14, v4
	v_sub_f16_e32 v2, v6, v2
	v_fma_f16 v13, v53, 2.0, -v55
	v_fma_f16 v29, v54, 2.0, -v56
	v_fmamk_f16 v30, v37, 0x39a8, v35
	v_fma_f16 v9, v34, 2.0, -v33
	v_fma_f16 v11, v38, 2.0, -v40
	v_fmac_f16_e32 v27, 0xb61f, v55
	v_fmac_f16_e32 v28, 0x361f, v40
	;; [unrolled: 1-line block ×3, first 2 shown]
	v_fmamk_f16 v37, v0, 0xb9a8, v3
	v_fmamk_f16 v40, v5, 0xb9a8, v8
	v_sub_f16_e32 v54, v1, v12
	v_add_f16_e32 v55, v4, v2
	v_fma_f16 v7, v7, 2.0, -v57
	v_fma_f16 v10, v10, 2.0, -v62
	;; [unrolled: 1-line block ×4, first 2 shown]
	v_fmamk_f16 v53, v13, 0xb61f, v29
	v_fma_f16 v26, v26, 2.0, -v1
	v_fma_f16 v2, v6, 2.0, -v2
	;; [unrolled: 1-line block ×4, first 2 shown]
	v_fmac_f16_e32 v30, 0xb9a8, v41
	v_fmamk_f16 v41, v11, 0xb61f, v9
	v_fmac_f16_e32 v37, 0xb9a8, v5
	v_fmac_f16_e32 v40, 0x39a8, v0
	v_fma_f16 v0, v1, 2.0, -v54
	v_fma_f16 v1, v4, 2.0, -v55
	v_fmamk_f16 v4, v10, 0xbb64, v7
	v_fmamk_f16 v5, v31, 0xbb64, v32
	;; [unrolled: 1-line block ×4, first 2 shown]
	v_fmac_f16_e32 v53, 0x3b64, v11
	v_sub_f16_e32 v2, v26, v2
	v_sub_f16_e32 v11, v6, v12
	v_fmac_f16_e32 v41, 0xbb64, v13
	v_fma_f16 v12, v35, 2.0, -v30
	v_fma_f16 v13, v52, 2.0, -v39
	v_fmac_f16_e32 v4, 0xb61f, v31
	v_fmac_f16_e32 v5, 0x361f, v10
	;; [unrolled: 1-line block ×4, first 2 shown]
	v_fma_f16 v10, v26, 2.0, -v2
	v_fma_f16 v6, v6, 2.0, -v11
	v_pack_b32_f16 v0, v0, v1
	v_pack_b32_f16 v1, v12, v13
	v_fma_f16 v7, v7, 2.0, -v4
	v_fma_f16 v12, v32, 2.0, -v5
	;; [unrolled: 1-line block ×10, first 2 shown]
	v_pack_b32_f16 v6, v10, v6
	v_or_b32_e32 v10, 0x240, v19
	v_pack_b32_f16 v7, v7, v12
	v_pack_b32_f16 v3, v3, v8
	;; [unrolled: 1-line block ×3, first 2 shown]
	v_add_nc_u32_e32 v12, 0x270, v19
	v_pack_b32_f16 v2, v2, v11
	v_pack_b32_f16 v4, v4, v5
	;; [unrolled: 1-line block ×4, first 2 shown]
	global_store_dword v[42:43], v6, off
	global_store_dword v[15:16], v7, off
	;; [unrolled: 1-line block ×10, first 2 shown]
	v_mad_u64_u32 v[2:3], null, s2, v61, 0
	v_mad_u64_u32 v[4:5], null, s2, v10, 0
	;; [unrolled: 1-line block ×3, first 2 shown]
	v_lshlrev_b64 v[0:1], 2, v[58:59]
	v_add_nc_u32_e32 v14, 0x2a0, v19
	v_pack_b32_f16 v13, v37, v40
	v_mad_u64_u32 v[8:9], null, s3, v61, v[3:4]
	v_mad_u64_u32 v[9:10], null, s3, v10, v[5:6]
	v_mov_b32_e32 v5, v7
	v_mad_u64_u32 v[10:11], null, s2, v14, 0
	v_add_co_u32 v0, vcc_lo, v60, v0
	v_mov_b32_e32 v3, v8
	v_mad_u64_u32 v[7:8], null, s3, v12, v[5:6]
	v_add_nc_u32_e32 v12, 0x2d0, v19
	v_add_co_ci_u32_e32 v1, vcc_lo, v69, v1, vcc_lo
	v_mov_b32_e32 v5, v9
	v_mad_u64_u32 v[8:9], null, s2, v12, 0
	global_store_dword v[0:1], v13, off
	v_lshlrev_b64 v[0:1], 2, v[2:3]
	v_mov_b32_e32 v2, v11
	v_lshlrev_b64 v[4:5], 2, v[4:5]
	v_lshlrev_b64 v[6:7], 2, v[6:7]
	v_mad_u64_u32 v[2:3], null, s3, v14, v[2:3]
	v_mov_b32_e32 v3, v9
	v_add_co_u32 v0, vcc_lo, v60, v0
	v_add_co_ci_u32_e32 v1, vcc_lo, v69, v1, vcc_lo
	v_mad_u64_u32 v[12:13], null, s3, v12, v[3:4]
	v_mov_b32_e32 v11, v2
	v_add_co_u32 v2, vcc_lo, v60, v4
	v_add_co_ci_u32_e32 v3, vcc_lo, v69, v5, vcc_lo
	v_lshlrev_b64 v[4:5], 2, v[10:11]
	v_mov_b32_e32 v9, v12
	v_add_co_u32 v6, vcc_lo, v60, v6
	v_add_co_ci_u32_e32 v7, vcc_lo, v69, v7, vcc_lo
	v_lshlrev_b64 v[8:9], 2, v[8:9]
	v_add_co_u32 v4, vcc_lo, v60, v4
	v_pack_b32_f16 v14, v41, v53
	v_pack_b32_f16 v13, v54, v55
	v_add_co_ci_u32_e32 v5, vcc_lo, v69, v5, vcc_lo
	v_pack_b32_f16 v10, v34, v38
	v_add_co_u32 v8, vcc_lo, v60, v8
	v_pack_b32_f16 v11, v30, v39
	v_add_co_ci_u32_e32 v9, vcc_lo, v69, v9, vcc_lo
	v_pack_b32_f16 v12, v27, v28
	global_store_dword v[0:1], v14, off
	global_store_dword v[2:3], v13, off
	;; [unrolled: 1-line block ×5, first 2 shown]
.LBB0_23:
	s_endpgm
	.section	.rodata,"a",@progbits
	.p2align	6, 0x0
	.amdhsa_kernel fft_rtc_fwd_len768_factors_16_3_16_wgs_48_tpt_48_halfLds_half_op_CI_CI_sbrr_dirReg
		.amdhsa_group_segment_fixed_size 0
		.amdhsa_private_segment_fixed_size 0
		.amdhsa_kernarg_size 104
		.amdhsa_user_sgpr_count 6
		.amdhsa_user_sgpr_private_segment_buffer 1
		.amdhsa_user_sgpr_dispatch_ptr 0
		.amdhsa_user_sgpr_queue_ptr 0
		.amdhsa_user_sgpr_kernarg_segment_ptr 1
		.amdhsa_user_sgpr_dispatch_id 0
		.amdhsa_user_sgpr_flat_scratch_init 0
		.amdhsa_user_sgpr_private_segment_size 0
		.amdhsa_wavefront_size32 1
		.amdhsa_uses_dynamic_stack 0
		.amdhsa_system_sgpr_private_segment_wavefront_offset 0
		.amdhsa_system_sgpr_workgroup_id_x 1
		.amdhsa_system_sgpr_workgroup_id_y 0
		.amdhsa_system_sgpr_workgroup_id_z 0
		.amdhsa_system_sgpr_workgroup_info 0
		.amdhsa_system_vgpr_workitem_id 0
		.amdhsa_next_free_vgpr 92
		.amdhsa_next_free_sgpr 31
		.amdhsa_reserve_vcc 1
		.amdhsa_reserve_flat_scratch 0
		.amdhsa_float_round_mode_32 0
		.amdhsa_float_round_mode_16_64 0
		.amdhsa_float_denorm_mode_32 3
		.amdhsa_float_denorm_mode_16_64 3
		.amdhsa_dx10_clamp 1
		.amdhsa_ieee_mode 1
		.amdhsa_fp16_overflow 0
		.amdhsa_workgroup_processor_mode 1
		.amdhsa_memory_ordered 1
		.amdhsa_forward_progress 0
		.amdhsa_shared_vgpr_count 0
		.amdhsa_exception_fp_ieee_invalid_op 0
		.amdhsa_exception_fp_denorm_src 0
		.amdhsa_exception_fp_ieee_div_zero 0
		.amdhsa_exception_fp_ieee_overflow 0
		.amdhsa_exception_fp_ieee_underflow 0
		.amdhsa_exception_fp_ieee_inexact 0
		.amdhsa_exception_int_div_zero 0
	.end_amdhsa_kernel
	.text
.Lfunc_end0:
	.size	fft_rtc_fwd_len768_factors_16_3_16_wgs_48_tpt_48_halfLds_half_op_CI_CI_sbrr_dirReg, .Lfunc_end0-fft_rtc_fwd_len768_factors_16_3_16_wgs_48_tpt_48_halfLds_half_op_CI_CI_sbrr_dirReg
                                        ; -- End function
	.section	.AMDGPU.csdata,"",@progbits
; Kernel info:
; codeLenInByte = 8404
; NumSgprs: 33
; NumVgprs: 92
; ScratchSize: 0
; MemoryBound: 0
; FloatMode: 240
; IeeeMode: 1
; LDSByteSize: 0 bytes/workgroup (compile time only)
; SGPRBlocks: 4
; VGPRBlocks: 11
; NumSGPRsForWavesPerEU: 33
; NumVGPRsForWavesPerEU: 92
; Occupancy: 10
; WaveLimiterHint : 1
; COMPUTE_PGM_RSRC2:SCRATCH_EN: 0
; COMPUTE_PGM_RSRC2:USER_SGPR: 6
; COMPUTE_PGM_RSRC2:TRAP_HANDLER: 0
; COMPUTE_PGM_RSRC2:TGID_X_EN: 1
; COMPUTE_PGM_RSRC2:TGID_Y_EN: 0
; COMPUTE_PGM_RSRC2:TGID_Z_EN: 0
; COMPUTE_PGM_RSRC2:TIDIG_COMP_CNT: 0
	.text
	.p2alignl 6, 3214868480
	.fill 48, 4, 3214868480
	.type	__hip_cuid_975388fd87667544,@object ; @__hip_cuid_975388fd87667544
	.section	.bss,"aw",@nobits
	.globl	__hip_cuid_975388fd87667544
__hip_cuid_975388fd87667544:
	.byte	0                               ; 0x0
	.size	__hip_cuid_975388fd87667544, 1

	.ident	"AMD clang version 19.0.0git (https://github.com/RadeonOpenCompute/llvm-project roc-6.4.0 25133 c7fe45cf4b819c5991fe208aaa96edf142730f1d)"
	.section	".note.GNU-stack","",@progbits
	.addrsig
	.addrsig_sym __hip_cuid_975388fd87667544
	.amdgpu_metadata
---
amdhsa.kernels:
  - .args:
      - .actual_access:  read_only
        .address_space:  global
        .offset:         0
        .size:           8
        .value_kind:     global_buffer
      - .offset:         8
        .size:           8
        .value_kind:     by_value
      - .actual_access:  read_only
        .address_space:  global
        .offset:         16
        .size:           8
        .value_kind:     global_buffer
      - .actual_access:  read_only
        .address_space:  global
        .offset:         24
        .size:           8
        .value_kind:     global_buffer
      - .actual_access:  read_only
        .address_space:  global
        .offset:         32
        .size:           8
        .value_kind:     global_buffer
      - .offset:         40
        .size:           8
        .value_kind:     by_value
      - .actual_access:  read_only
        .address_space:  global
        .offset:         48
        .size:           8
        .value_kind:     global_buffer
      - .actual_access:  read_only
        .address_space:  global
        .offset:         56
        .size:           8
        .value_kind:     global_buffer
      - .offset:         64
        .size:           4
        .value_kind:     by_value
      - .actual_access:  read_only
        .address_space:  global
        .offset:         72
        .size:           8
        .value_kind:     global_buffer
      - .actual_access:  read_only
        .address_space:  global
        .offset:         80
        .size:           8
        .value_kind:     global_buffer
      - .actual_access:  read_only
        .address_space:  global
        .offset:         88
        .size:           8
        .value_kind:     global_buffer
      - .actual_access:  write_only
        .address_space:  global
        .offset:         96
        .size:           8
        .value_kind:     global_buffer
    .group_segment_fixed_size: 0
    .kernarg_segment_align: 8
    .kernarg_segment_size: 104
    .language:       OpenCL C
    .language_version:
      - 2
      - 0
    .max_flat_workgroup_size: 48
    .name:           fft_rtc_fwd_len768_factors_16_3_16_wgs_48_tpt_48_halfLds_half_op_CI_CI_sbrr_dirReg
    .private_segment_fixed_size: 0
    .sgpr_count:     33
    .sgpr_spill_count: 0
    .symbol:         fft_rtc_fwd_len768_factors_16_3_16_wgs_48_tpt_48_halfLds_half_op_CI_CI_sbrr_dirReg.kd
    .uniform_work_group_size: 1
    .uses_dynamic_stack: false
    .vgpr_count:     92
    .vgpr_spill_count: 0
    .wavefront_size: 32
    .workgroup_processor_mode: 1
amdhsa.target:   amdgcn-amd-amdhsa--gfx1030
amdhsa.version:
  - 1
  - 2
...

	.end_amdgpu_metadata
